;; amdgpu-corpus repo=ROCm/rocFFT kind=compiled arch=gfx950 opt=O3
	.text
	.amdgcn_target "amdgcn-amd-amdhsa--gfx950"
	.amdhsa_code_object_version 6
	.protected	fft_rtc_back_len800_factors_16_5_10_wgs_160_tpt_160_halfLds_dp_ip_CI_unitstride_sbrr_dirReg ; -- Begin function fft_rtc_back_len800_factors_16_5_10_wgs_160_tpt_160_halfLds_dp_ip_CI_unitstride_sbrr_dirReg
	.globl	fft_rtc_back_len800_factors_16_5_10_wgs_160_tpt_160_halfLds_dp_ip_CI_unitstride_sbrr_dirReg
	.p2align	8
	.type	fft_rtc_back_len800_factors_16_5_10_wgs_160_tpt_160_halfLds_dp_ip_CI_unitstride_sbrr_dirReg,@function
fft_rtc_back_len800_factors_16_5_10_wgs_160_tpt_160_halfLds_dp_ip_CI_unitstride_sbrr_dirReg: ; @fft_rtc_back_len800_factors_16_5_10_wgs_160_tpt_160_halfLds_dp_ip_CI_unitstride_sbrr_dirReg
; %bb.0:
	s_load_dwordx2 s[8:9], s[0:1], 0x50
	s_load_dwordx4 s[4:7], s[0:1], 0x0
	s_load_dwordx2 s[10:11], s[0:1], 0x18
	v_mul_u32_u24_e32 v1, 0x19a, v0
	v_add_u32_sdwa v6, s2, v1 dst_sel:DWORD dst_unused:UNUSED_PAD src0_sel:DWORD src1_sel:WORD_1
	v_mov_b32_e32 v4, 0
	s_waitcnt lgkmcnt(0)
	v_cmp_lt_u64_e64 s[2:3], s[6:7], 2
	v_mov_b32_e32 v7, v4
	s_and_b64 vcc, exec, s[2:3]
	v_mov_b64_e32 v[2:3], 0
	s_cbranch_vccnz .LBB0_8
; %bb.1:
	s_load_dwordx2 s[2:3], s[0:1], 0x10
	s_add_u32 s12, s10, 8
	s_addc_u32 s13, s11, 0
	s_mov_b64 s[14:15], 1
	v_mov_b64_e32 v[2:3], 0
	s_waitcnt lgkmcnt(0)
	s_add_u32 s16, s2, 8
	s_addc_u32 s17, s3, 0
.LBB0_2:                                ; =>This Inner Loop Header: Depth=1
	s_load_dwordx2 s[18:19], s[16:17], 0x0
                                        ; implicit-def: $vgpr8_vgpr9
	s_waitcnt lgkmcnt(0)
	v_or_b32_e32 v5, s19, v7
	v_cmp_ne_u64_e32 vcc, 0, v[4:5]
	s_and_saveexec_b64 s[2:3], vcc
	s_xor_b64 s[20:21], exec, s[2:3]
	s_cbranch_execz .LBB0_4
; %bb.3:                                ;   in Loop: Header=BB0_2 Depth=1
	v_cvt_f32_u32_e32 v1, s18
	v_cvt_f32_u32_e32 v5, s19
	s_sub_u32 s2, 0, s18
	s_subb_u32 s3, 0, s19
	v_fmac_f32_e32 v1, 0x4f800000, v5
	v_rcp_f32_e32 v1, v1
	s_nop 0
	v_mul_f32_e32 v1, 0x5f7ffffc, v1
	v_mul_f32_e32 v5, 0x2f800000, v1
	v_trunc_f32_e32 v5, v5
	v_fmac_f32_e32 v1, 0xcf800000, v5
	v_cvt_u32_f32_e32 v5, v5
	v_cvt_u32_f32_e32 v1, v1
	v_mul_lo_u32 v8, s2, v5
	v_mul_hi_u32 v10, s2, v1
	v_mul_lo_u32 v9, s3, v1
	v_add_u32_e32 v10, v10, v8
	v_mul_lo_u32 v12, s2, v1
	v_add_u32_e32 v13, v10, v9
	v_mul_hi_u32 v8, v1, v12
	v_mul_hi_u32 v11, v1, v13
	v_mul_lo_u32 v10, v1, v13
	v_mov_b32_e32 v9, v4
	v_lshl_add_u64 v[8:9], v[8:9], 0, v[10:11]
	v_mul_hi_u32 v11, v5, v12
	v_mul_lo_u32 v12, v5, v12
	v_add_co_u32_e32 v8, vcc, v8, v12
	v_mul_hi_u32 v10, v5, v13
	s_nop 0
	v_addc_co_u32_e32 v8, vcc, v9, v11, vcc
	v_mov_b32_e32 v9, v4
	s_nop 0
	v_addc_co_u32_e32 v11, vcc, 0, v10, vcc
	v_mul_lo_u32 v10, v5, v13
	v_lshl_add_u64 v[8:9], v[8:9], 0, v[10:11]
	v_add_co_u32_e32 v1, vcc, v1, v8
	v_mul_lo_u32 v10, s2, v1
	s_nop 0
	v_addc_co_u32_e32 v5, vcc, v5, v9, vcc
	v_mul_lo_u32 v8, s2, v5
	v_mul_hi_u32 v9, s2, v1
	v_add_u32_e32 v8, v9, v8
	v_mul_lo_u32 v9, s3, v1
	v_add_u32_e32 v12, v8, v9
	v_mul_hi_u32 v14, v5, v10
	v_mul_lo_u32 v15, v5, v10
	v_mul_hi_u32 v9, v1, v12
	v_mul_lo_u32 v8, v1, v12
	v_mul_hi_u32 v10, v1, v10
	v_mov_b32_e32 v11, v4
	v_lshl_add_u64 v[8:9], v[10:11], 0, v[8:9]
	v_add_co_u32_e32 v8, vcc, v8, v15
	v_mul_hi_u32 v13, v5, v12
	s_nop 0
	v_addc_co_u32_e32 v8, vcc, v9, v14, vcc
	v_mul_lo_u32 v10, v5, v12
	s_nop 0
	v_addc_co_u32_e32 v11, vcc, 0, v13, vcc
	v_mov_b32_e32 v9, v4
	v_lshl_add_u64 v[8:9], v[8:9], 0, v[10:11]
	v_add_co_u32_e32 v1, vcc, v1, v8
	v_mul_hi_u32 v10, v6, v1
	s_nop 0
	v_addc_co_u32_e32 v5, vcc, v5, v9, vcc
	v_mad_u64_u32 v[8:9], s[2:3], v6, v5, 0
	v_mov_b32_e32 v11, v4
	v_lshl_add_u64 v[8:9], v[10:11], 0, v[8:9]
	v_mad_u64_u32 v[12:13], s[2:3], v7, v1, 0
	v_add_co_u32_e32 v1, vcc, v8, v12
	v_mad_u64_u32 v[10:11], s[2:3], v7, v5, 0
	s_nop 0
	v_addc_co_u32_e32 v8, vcc, v9, v13, vcc
	v_mov_b32_e32 v9, v4
	s_nop 0
	v_addc_co_u32_e32 v11, vcc, 0, v11, vcc
	v_lshl_add_u64 v[8:9], v[8:9], 0, v[10:11]
	v_mul_lo_u32 v1, s19, v8
	v_mul_lo_u32 v5, s18, v9
	v_mad_u64_u32 v[10:11], s[2:3], s18, v8, 0
	v_add3_u32 v1, v11, v5, v1
	v_sub_u32_e32 v5, v7, v1
	v_mov_b32_e32 v11, s19
	v_sub_co_u32_e32 v14, vcc, v6, v10
	v_lshl_add_u64 v[12:13], v[8:9], 0, 1
	s_nop 0
	v_subb_co_u32_e64 v5, s[2:3], v5, v11, vcc
	v_subrev_co_u32_e64 v10, s[2:3], s18, v14
	v_subb_co_u32_e32 v1, vcc, v7, v1, vcc
	s_nop 0
	v_subbrev_co_u32_e64 v5, s[2:3], 0, v5, s[2:3]
	v_cmp_le_u32_e64 s[2:3], s19, v5
	v_cmp_le_u32_e32 vcc, s19, v1
	s_nop 0
	v_cndmask_b32_e64 v11, 0, -1, s[2:3]
	v_cmp_le_u32_e64 s[2:3], s18, v10
	s_nop 1
	v_cndmask_b32_e64 v10, 0, -1, s[2:3]
	v_cmp_eq_u32_e64 s[2:3], s19, v5
	s_nop 1
	v_cndmask_b32_e64 v5, v11, v10, s[2:3]
	v_lshl_add_u64 v[10:11], v[8:9], 0, 2
	v_cmp_ne_u32_e64 s[2:3], 0, v5
	s_nop 1
	v_cndmask_b32_e64 v5, v13, v11, s[2:3]
	v_cndmask_b32_e64 v11, 0, -1, vcc
	v_cmp_le_u32_e32 vcc, s18, v14
	s_nop 1
	v_cndmask_b32_e64 v13, 0, -1, vcc
	v_cmp_eq_u32_e32 vcc, s19, v1
	s_nop 1
	v_cndmask_b32_e32 v1, v11, v13, vcc
	v_cmp_ne_u32_e32 vcc, 0, v1
	v_cndmask_b32_e64 v1, v12, v10, s[2:3]
	s_nop 0
	v_cndmask_b32_e32 v9, v9, v5, vcc
	v_cndmask_b32_e32 v8, v8, v1, vcc
.LBB0_4:                                ;   in Loop: Header=BB0_2 Depth=1
	s_andn2_saveexec_b64 s[2:3], s[20:21]
	s_cbranch_execz .LBB0_6
; %bb.5:                                ;   in Loop: Header=BB0_2 Depth=1
	v_cvt_f32_u32_e32 v1, s18
	s_sub_i32 s20, 0, s18
	v_rcp_iflag_f32_e32 v1, v1
	s_nop 0
	v_mul_f32_e32 v1, 0x4f7ffffe, v1
	v_cvt_u32_f32_e32 v1, v1
	v_mul_lo_u32 v5, s20, v1
	v_mul_hi_u32 v5, v1, v5
	v_add_u32_e32 v1, v1, v5
	v_mul_hi_u32 v1, v6, v1
	v_mul_lo_u32 v5, v1, s18
	v_sub_u32_e32 v5, v6, v5
	v_add_u32_e32 v8, 1, v1
	v_subrev_u32_e32 v9, s18, v5
	v_cmp_le_u32_e32 vcc, s18, v5
	s_nop 1
	v_cndmask_b32_e32 v5, v5, v9, vcc
	v_cndmask_b32_e32 v1, v1, v8, vcc
	v_add_u32_e32 v8, 1, v1
	v_cmp_le_u32_e32 vcc, s18, v5
	v_mov_b32_e32 v9, v4
	s_nop 0
	v_cndmask_b32_e32 v8, v1, v8, vcc
.LBB0_6:                                ;   in Loop: Header=BB0_2 Depth=1
	s_or_b64 exec, exec, s[2:3]
	v_mad_u64_u32 v[10:11], s[2:3], v8, s18, 0
	s_load_dwordx2 s[2:3], s[12:13], 0x0
	v_mul_lo_u32 v1, v9, s18
	v_mul_lo_u32 v5, v8, s19
	v_add3_u32 v1, v11, v5, v1
	v_sub_co_u32_e32 v5, vcc, v6, v10
	s_add_u32 s14, s14, 1
	s_nop 0
	v_subb_co_u32_e32 v1, vcc, v7, v1, vcc
	s_addc_u32 s15, s15, 0
	s_waitcnt lgkmcnt(0)
	v_mul_lo_u32 v1, s2, v1
	v_mul_lo_u32 v6, s3, v5
	v_mad_u64_u32 v[2:3], s[2:3], s2, v5, v[2:3]
	s_add_u32 s12, s12, 8
	v_add3_u32 v3, v6, v3, v1
	s_addc_u32 s13, s13, 0
	v_mov_b64_e32 v[6:7], s[6:7]
	s_add_u32 s16, s16, 8
	v_cmp_ge_u64_e32 vcc, s[14:15], v[6:7]
	s_addc_u32 s17, s17, 0
	s_cbranch_vccnz .LBB0_9
; %bb.7:                                ;   in Loop: Header=BB0_2 Depth=1
	v_mov_b64_e32 v[6:7], v[8:9]
	s_branch .LBB0_2
.LBB0_8:
	v_mov_b64_e32 v[8:9], v[6:7]
.LBB0_9:
	s_lshl_b64 s[2:3], s[6:7], 3
	s_add_u32 s2, s10, s2
	s_addc_u32 s3, s11, s3
	s_load_dwordx2 s[6:7], s[2:3], 0x0
	s_load_dwordx2 s[10:11], s[0:1], 0x20
                                        ; implicit-def: $vgpr24_vgpr25
                                        ; implicit-def: $vgpr6_vgpr7
                                        ; implicit-def: $vgpr16_vgpr17
                                        ; implicit-def: $vgpr28_vgpr29
                                        ; implicit-def: $vgpr32_vgpr33
                                        ; implicit-def: $vgpr20_vgpr21
                                        ; implicit-def: $vgpr48_vgpr49
                                        ; implicit-def: $vgpr44_vgpr45
                                        ; implicit-def: $vgpr56_vgpr57
                                        ; implicit-def: $vgpr52_vgpr53
                                        ; implicit-def: $vgpr64_vgpr65
                                        ; implicit-def: $vgpr60_vgpr61
                                        ; implicit-def: $vgpr40_vgpr41
                                        ; implicit-def: $vgpr36_vgpr37
                                        ; implicit-def: $vgpr12_vgpr13
	s_waitcnt lgkmcnt(0)
	v_mad_u64_u32 v[2:3], s[0:1], s6, v8, v[2:3]
	v_mul_lo_u32 v1, s6, v9
	v_mul_lo_u32 v4, s7, v8
	s_mov_b32 s0, 0x199999a
	v_add3_u32 v3, v4, v3, v1
	v_mul_hi_u32 v1, v0, s0
	v_mul_u32_u24_e32 v1, 0xa0, v1
	v_sub_u32_e32 v66, v0, v1
	v_cmp_gt_u64_e32 vcc, s[10:11], v[8:9]
	v_cmp_gt_u32_e64 s[0:1], 50, v66
	s_and_b64 s[2:3], vcc, s[0:1]
	v_lshl_add_u64 v[68:69], v[2:3], 4, s[8:9]
                                        ; implicit-def: $vgpr2_vgpr3
	s_and_saveexec_b64 s[6:7], s[2:3]
	s_cbranch_execz .LBB0_11
; %bb.10:
	v_mov_b32_e32 v67, 0
	v_lshl_add_u64 v[8:9], v[66:67], 4, v[68:69]
	s_movk_i32 s2, 0x1000
	v_add_co_u32_e64 v70, s[2:3], s2, v8
	global_load_dwordx4 v[10:13], v[8:9], off
	global_load_dwordx4 v[0:3], v[8:9], off offset:800
	global_load_dwordx4 v[22:25], v[8:9], off offset:1600
	;; [unrolled: 1-line block ×5, first 2 shown]
	v_addc_co_u32_e64 v71, s[2:3], 0, v9, s[2:3]
	s_movk_i32 s2, 0x2000
	s_nop 0
	v_add_co_u32_e64 v8, s[2:3], s2, v8
	global_load_dwordx4 v[34:37], v[70:71], off offset:704
	global_load_dwordx4 v[30:33], v[70:71], off offset:1504
	;; [unrolled: 1-line block ×4, first 2 shown]
	v_addc_co_u32_e64 v9, s[2:3], 0, v9, s[2:3]
	global_load_dwordx4 v[46:49], v[70:71], off offset:3904
	global_load_dwordx4 v[42:45], v[8:9], off offset:608
	;; [unrolled: 1-line block ×6, first 2 shown]
.LBB0_11:
	s_or_b64 exec, exec, s[6:7]
	s_waitcnt vmcnt(5)
	v_add_f64 v[48:49], v[24:25], -v[48:49]
	v_add_f64 v[8:9], v[10:11], -v[18:19]
	s_waitcnt vmcnt(3)
	v_add_f64 v[18:19], v[14:15], -v[54:55]
	v_add_f64 v[54:55], v[16:17], -v[56:57]
	;; [unrolled: 1-line block ×3, first 2 shown]
	v_fma_f64 v[46:47], v[24:25], 2.0, -v[48:49]
	s_waitcnt vmcnt(1)
	v_add_f64 v[24:25], v[34:35], -v[62:63]
	v_add_f64 v[62:63], v[36:37], -v[64:65]
	v_fma_f64 v[64:65], v[34:35], 2.0, -v[24:25]
	v_fma_f64 v[70:71], v[36:37], 2.0, -v[62:63]
	v_add_f64 v[34:35], v[0:1], -v[38:39]
	v_add_f64 v[36:37], v[2:3], -v[40:41]
	;; [unrolled: 1-line block ×5, first 2 shown]
	s_waitcnt vmcnt(0)
	v_add_f64 v[52:53], v[32:33], -v[60:61]
	v_fma_f64 v[28:29], v[28:29], 2.0, -v[40:41]
	v_add_f64 v[44:45], v[6:7], -v[44:45]
	v_add_f64 v[50:51], v[30:31], -v[58:59]
	v_add_f64 v[74:75], v[40:41], v[34:35]
	v_add_f64 v[76:77], v[36:37], -v[38:39]
	v_add_f64 v[40:41], v[42:43], v[52:53]
	s_mov_b32 s10, 0x667f3bcd
	v_fma_f64 v[2:3], v[2:3], 2.0, -v[36:37]
	v_fma_f64 v[26:27], v[26:27], 2.0, -v[38:39]
	;; [unrolled: 1-line block ×5, first 2 shown]
	v_add_f64 v[50:51], v[44:45], -v[50:51]
	v_fma_f64 v[36:37], v[42:43], 2.0, -v[40:41]
	s_mov_b32 s11, 0x3fe6a09e
	s_mov_b32 s3, 0xbfe6a09e
	;; [unrolled: 1-line block ×3, first 2 shown]
	v_fma_f64 v[22:23], v[22:23], 2.0, -v[56:57]
	v_fma_f64 v[0:1], v[0:1], 2.0, -v[34:35]
	;; [unrolled: 1-line block ×3, first 2 shown]
	v_fma_f64 v[30:31], s[2:3], v[36:37], v[38:39]
	v_fma_f64 v[10:11], v[10:11], 2.0, -v[8:9]
	v_fma_f64 v[14:15], v[14:15], 2.0, -v[18:19]
	;; [unrolled: 1-line block ×5, first 2 shown]
	v_fmac_f64_e32 v[30:31], s[10:11], v[34:35]
	v_fma_f64 v[34:35], s[2:3], v[34:35], v[72:73]
	v_add_f64 v[78:79], v[10:11], -v[14:15]
	v_add_f64 v[82:83], v[54:55], v[8:9]
	v_add_f64 v[14:15], v[22:23], -v[64:65]
	v_add_f64 v[28:29], v[2:3], -v[28:29]
	v_fmac_f64_e32 v[34:35], s[2:3], v[36:37]
	v_fma_f64 v[36:37], s[10:11], v[40:41], v[74:75]
	v_fma_f64 v[10:11], v[10:11], 2.0, -v[78:79]
	v_fma_f64 v[44:45], v[8:9], 2.0, -v[82:83]
	;; [unrolled: 1-line block ×3, first 2 shown]
	v_add_f64 v[22:23], v[56:57], v[62:63]
	v_add_f64 v[26:27], v[0:1], -v[26:27]
	v_fma_f64 v[52:53], v[2:3], 2.0, -v[28:29]
	v_add_f64 v[2:3], v[4:5], -v[58:59]
	v_add_f64 v[88:89], v[6:7], -v[32:33]
	v_fmac_f64_e32 v[36:37], s[10:11], v[50:51]
	v_fma_f64 v[42:43], s[10:11], v[50:51], v[76:77]
	v_add_f64 v[24:25], v[48:49], -v[24:25]
	v_fma_f64 v[50:51], v[56:57], 2.0, -v[22:23]
	v_fma_f64 v[0:1], v[0:1], 2.0, -v[26:27]
	v_fma_f64 v[4:5], v[4:5], 2.0, -v[2:3]
	v_fma_f64 v[6:7], v[6:7], 2.0, -v[88:89]
	v_add_f64 v[8:9], v[10:11], -v[8:9]
	v_fmac_f64_e32 v[42:43], s[2:3], v[40:41]
	v_add_f64 v[40:41], v[46:47], -v[70:71]
	v_fma_f64 v[48:49], v[48:49], 2.0, -v[24:25]
	v_fma_f64 v[80:81], v[10:11], 2.0, -v[8:9]
	v_fma_f64 v[10:11], s[2:3], v[50:51], v[44:45]
	v_fma_f64 v[86:87], s[10:11], v[22:23], v[82:83]
	v_add_f64 v[32:33], v[0:1], -v[4:5]
	v_add_f64 v[70:71], v[52:53], -v[6:7]
	v_add_f64 v[4:5], v[88:89], v[26:27]
	v_add_f64 v[6:7], v[28:29], -v[2:3]
	s_mov_b32 s2, 0xcf328d46
	s_mov_b32 s6, 0xa6aea964
	v_fmac_f64_e32 v[10:11], s[10:11], v[48:49]
	v_mul_f64 v[60:61], v[22:23], s[10:11]
	v_fmac_f64_e32 v[86:87], s[10:11], v[24:25]
	v_mul_f64 v[64:65], v[24:25], s[10:11]
	v_fma_f64 v[22:23], v[26:27], 2.0, -v[4:5]
	v_fma_f64 v[24:25], v[28:29], 2.0, -v[6:7]
	s_mov_b32 s3, 0xbfed906b
	s_mov_b32 s7, 0x3fd87de2
	;; [unrolled: 1-line block ×4, first 2 shown]
	v_add_f64 v[88:89], v[40:41], v[78:79]
	v_mul_f64 v[56:57], v[50:51], s[10:11]
	v_mul_f64 v[62:63], v[48:49], s[10:11]
	v_fma_f64 v[84:85], v[44:45], 2.0, -v[10:11]
	v_fma_f64 v[58:59], v[38:39], 2.0, -v[30:31]
	v_mul_f64 v[48:49], v[22:23], s[10:11]
	v_mul_f64 v[50:51], v[24:25], s[10:11]
	v_fma_f64 v[28:29], s[6:7], v[30:31], v[10:11]
	v_fma_f64 v[22:23], s[10:11], v[4:5], v[88:89]
	;; [unrolled: 1-line block ×3, first 2 shown]
	v_fma_f64 v[0:1], v[0:1], 2.0, -v[32:33]
	v_fma_f64 v[72:73], v[72:73], 2.0, -v[34:35]
	v_fma_f64 v[2:3], s[2:3], v[58:59], v[84:85]
	v_fmac_f64_e32 v[28:29], s[8:9], v[34:35]
	v_fmac_f64_e32 v[22:23], s[10:11], v[6:7]
	;; [unrolled: 1-line block ×3, first 2 shown]
	v_fma_f64 v[38:39], v[74:75], 2.0, -v[36:37]
	v_fma_f64 v[44:45], v[76:77], 2.0, -v[42:43]
	v_add_f64 v[0:1], v[80:81], -v[0:1]
	v_fmac_f64_e32 v[2:3], s[6:7], v[72:73]
	v_mul_f64 v[74:75], v[4:5], s[10:11]
	v_mul_f64 v[76:77], v[6:7], s[10:11]
	v_fma_f64 v[4:5], v[88:89], 2.0, -v[22:23]
	v_fma_f64 v[6:7], v[86:87], 2.0, -v[24:25]
	;; [unrolled: 1-line block ×3, first 2 shown]
	s_and_saveexec_b64 s[10:11], s[0:1]
	s_cbranch_execz .LBB0_13
; %bb.12:
	v_fma_f64 v[82:83], v[82:83], 2.0, -v[86:87]
	s_mov_b32 s13, 0xbfd87de2
	s_mov_b32 s12, s6
	v_fma_f64 v[90:91], s[12:13], v[38:39], v[82:83]
	v_fmac_f64_e32 v[90:91], s[8:9], v[44:45]
	v_fma_f64 v[78:79], v[78:79], 2.0, -v[88:89]
	v_fma_f64 v[94:95], v[82:83], 2.0, -v[90:91]
	v_add_f64 v[82:83], v[78:79], -v[48:49]
	v_add_f64 v[26:27], v[70:71], v[8:9]
	v_add_f64 v[88:89], v[50:51], v[82:83]
	v_fma_f64 v[82:83], v[84:85], 2.0, -v[2:3]
	v_fma_f64 v[80:81], v[80:81], 2.0, -v[0:1]
	v_lshl_add_u32 v67, v66, 7, 0
	v_fma_f64 v[8:9], v[8:9], 2.0, -v[26:27]
	v_fma_f64 v[92:93], v[78:79], 2.0, -v[88:89]
	ds_write_b128 v67, v[80:83]
	ds_write_b128 v67, v[92:95] offset:16
	ds_write_b128 v67, v[8:11] offset:32
	;; [unrolled: 1-line block ×7, first 2 shown]
.LBB0_13:
	s_or_b64 exec, exec, s[10:11]
	v_add_f64 v[8:9], v[12:13], -v[20:21]
	v_fma_f64 v[12:13], v[12:13], 2.0, -v[8:9]
	v_fma_f64 v[16:17], v[16:17], 2.0, -v[54:55]
	v_add_f64 v[54:55], v[12:13], -v[16:17]
	v_fma_f64 v[12:13], v[12:13], 2.0, -v[54:55]
	v_add_f64 v[78:79], v[8:9], -v[18:19]
	v_fma_f64 v[16:17], v[46:47], 2.0, -v[40:41]
	v_fma_f64 v[8:9], v[8:9], 2.0, -v[78:79]
	v_add_f64 v[16:17], v[12:13], -v[16:17]
	v_fma_f64 v[80:81], v[12:13], 2.0, -v[16:17]
	v_add_f64 v[12:13], v[8:9], -v[62:63]
	v_add_f64 v[18:19], v[12:13], -v[56:57]
	v_fma_f64 v[46:47], v[8:9], 2.0, -v[18:19]
	v_add_f64 v[56:57], v[54:55], -v[14:15]
	v_add_f64 v[8:9], v[78:79], v[64:65]
	v_fma_f64 v[14:15], s[2:3], v[72:73], v[46:47]
	s_mov_b32 s11, 0xbfd87de2
	s_mov_b32 s10, s6
	v_add_f64 v[60:61], v[8:9], -v[60:61]
	v_fma_f64 v[8:9], v[52:53], 2.0, -v[70:71]
	v_fmac_f64_e32 v[14:15], s[10:11], v[58:59]
	v_fma_f64 v[40:41], s[6:7], v[34:35], v[18:19]
	v_lshl_add_u32 v58, v66, 3, 0
	v_add_f64 v[12:13], v[80:81], -v[8:9]
	v_fmac_f64_e32 v[40:41], s[2:3], v[30:31]
	v_add_f64 v[8:9], v[76:77], v[56:57]
	v_fma_f64 v[30:31], s[8:9], v[42:43], v[60:61]
	v_add_u32_e32 v42, 0x800, v58
	v_add_f64 v[28:29], v[8:9], -v[74:75]
	v_fmac_f64_e32 v[30:31], s[10:11], v[36:37]
	s_waitcnt lgkmcnt(0)
	s_barrier
	ds_read2_b64 v[24:27], v58 offset1:160
	ds_read2_b64 v[34:37], v42 offset0:64 offset1:224
	ds_read_b64 v[8:9], v58 offset:5120
	v_fma_f64 v[18:19], v[18:19], 2.0, -v[40:41]
	v_fma_f64 v[20:21], v[56:57], 2.0, -v[28:29]
	;; [unrolled: 1-line block ×3, first 2 shown]
	s_waitcnt lgkmcnt(0)
	s_barrier
	s_and_saveexec_b64 s[2:3], s[0:1]
	s_cbranch_execz .LBB0_15
; %bb.14:
	v_fma_f64 v[56:57], v[54:55], 2.0, -v[56:57]
	v_fma_f64 v[62:63], v[78:79], 2.0, -v[60:61]
	;; [unrolled: 1-line block ×3, first 2 shown]
	v_add_f64 v[46:47], v[56:57], -v[50:51]
	s_mov_b32 s10, 0xa6aea964
	s_mov_b32 s0, 0xcf328d46
	v_add_f64 v[46:47], v[46:47], -v[48:49]
	v_fma_f64 v[48:49], s[10:11], v[44:45], v[62:63]
	s_mov_b32 s1, 0xbfed906b
	v_fmac_f64_e32 v[48:49], s[0:1], v[38:39]
	s_movk_i32 s0, 0x78
	v_fma_f64 v[52:53], v[80:81], 2.0, -v[12:13]
	v_add_f64 v[38:39], v[16:17], -v[32:33]
	v_mad_u32_u24 v32, v66, s0, v58
	v_fma_f64 v[60:61], v[56:57], 2.0, -v[46:47]
	v_fma_f64 v[62:63], v[62:63], 2.0, -v[48:49]
	;; [unrolled: 1-line block ×3, first 2 shown]
	ds_write_b128 v32, v[52:55]
	ds_write_b128 v32, v[60:63] offset:16
	ds_write_b128 v32, v[16:19] offset:32
	;; [unrolled: 1-line block ×7, first 2 shown]
.LBB0_15:
	s_or_b64 exec, exec, s[2:3]
	v_and_b32_e32 v28, 15, v66
	v_lshlrev_b32_e32 v16, 6, v28
	s_waitcnt lgkmcnt(0)
	s_barrier
	global_load_dwordx4 v[38:41], v16, s[4:5]
	global_load_dwordx4 v[44:47], v16, s[4:5] offset:16
	global_load_dwordx4 v[60:63], v16, s[4:5] offset:32
	global_load_dwordx4 v[70:73], v16, s[4:5] offset:48
	ds_read2_b64 v[30:33], v58 offset1:160
	ds_read2_b64 v[74:77], v42 offset0:64 offset1:224
	ds_read_b64 v[16:17], v58 offset:5120
	v_lshrrev_b32_e32 v29, 4, v66
	v_mul_u32_u24_e32 v29, 0x50, v29
	v_or_b32_e32 v28, v29, v28
	v_lshl_add_u32 v56, v28, 3, 0
	s_mov_b32 s6, 0x134454ff
	s_mov_b32 s7, 0xbfee6f0e
	;; [unrolled: 1-line block ×10, first 2 shown]
	s_movk_i32 s0, 0x50
	v_cmp_gt_u32_e64 s[0:1], s0, v66
	s_waitcnt lgkmcnt(0)
	s_barrier
	s_waitcnt vmcnt(3)
	v_mul_f64 v[48:49], v[32:33], v[40:41]
	s_waitcnt vmcnt(2)
	v_mul_f64 v[50:51], v[74:75], v[46:47]
	;; [unrolled: 2-line block ×4, first 2 shown]
	v_mul_f64 v[28:29], v[26:27], v[40:41]
	v_mul_f64 v[42:43], v[34:35], v[46:47]
	;; [unrolled: 1-line block ×4, first 2 shown]
	v_fmac_f64_e32 v[48:49], v[26:27], v[38:39]
	v_fmac_f64_e32 v[50:51], v[34:35], v[44:45]
	;; [unrolled: 1-line block ×4, first 2 shown]
	v_fma_f64 v[40:41], v[32:33], v[38:39], -v[28:29]
	v_fma_f64 v[42:43], v[74:75], v[44:45], -v[42:43]
	;; [unrolled: 1-line block ×4, first 2 shown]
	v_add_f64 v[8:9], v[24:25], v[48:49]
	v_add_f64 v[16:17], v[50:51], v[52:53]
	;; [unrolled: 1-line block ×3, first 2 shown]
	v_add_f64 v[32:33], v[40:41], -v[46:47]
	v_add_f64 v[34:35], v[42:43], -v[44:45]
	;; [unrolled: 1-line block ×4, first 2 shown]
	v_add_f64 v[62:63], v[8:9], v[50:51]
	v_fma_f64 v[8:9], -0.5, v[16:17], v[24:25]
	v_fmac_f64_e32 v[24:25], -0.5, v[36:37]
	v_add_f64 v[38:39], v[50:51], -v[48:49]
	v_add_f64 v[60:61], v[52:53], -v[54:55]
	v_add_f64 v[16:17], v[26:27], v[28:29]
	v_fma_f64 v[28:29], s[6:7], v[32:33], v[8:9]
	v_fmac_f64_e32 v[8:9], s[10:11], v[32:33]
	v_fma_f64 v[36:37], s[10:11], v[34:35], v[24:25]
	v_fmac_f64_e32 v[24:25], s[6:7], v[34:35]
	v_add_f64 v[38:39], v[38:39], v[60:61]
	v_add_f64 v[26:27], v[62:63], v[52:53]
	v_fmac_f64_e32 v[28:29], s[2:3], v[34:35]
	v_fmac_f64_e32 v[8:9], s[12:13], v[34:35]
	;; [unrolled: 1-line block ×4, first 2 shown]
	v_add_f64 v[26:27], v[26:27], v[54:55]
	v_fmac_f64_e32 v[28:29], s[8:9], v[16:17]
	v_fmac_f64_e32 v[8:9], s[8:9], v[16:17]
	v_fmac_f64_e32 v[36:37], s[8:9], v[38:39]
	v_fmac_f64_e32 v[24:25], s[8:9], v[38:39]
	ds_write2_b64 v56, v[26:27], v[28:29] offset1:16
	ds_write2_b64 v56, v[36:37], v[24:25] offset0:32 offset1:48
	ds_write_b64 v56, v[8:9] offset:512
	s_waitcnt lgkmcnt(0)
	s_barrier
	s_and_saveexec_b64 s[14:15], s[0:1]
	s_cbranch_execz .LBB0_17
; %bb.16:
	v_add_u32_e32 v0, 0x800, v58
	ds_read2_b64 v[26:29], v58 offset1:80
	ds_read2_b64 v[36:39], v58 offset0:160 offset1:240
	ds_read2_b64 v[8:11], v0 offset0:64 offset1:144
	v_add_u32_e32 v0, 0xc00, v58
	ds_read2_b64 v[4:7], v0 offset0:96 offset1:176
	v_add_u32_e32 v0, 0x1000, v58
	ds_read2_b64 v[0:3], v0 offset0:128 offset1:208
	s_waitcnt lgkmcnt(3)
	v_mov_b64_e32 v[24:25], v[38:39]
.LBB0_17:
	s_or_b64 exec, exec, s[14:15]
	v_add_f64 v[16:17], v[30:31], v[40:41]
	v_add_f64 v[16:17], v[16:17], v[42:43]
	;; [unrolled: 1-line block ×5, first 2 shown]
	v_fma_f64 v[16:17], -0.5, v[16:17], v[30:31]
	v_add_f64 v[48:49], v[48:49], -v[54:55]
	v_fma_f64 v[34:35], s[10:11], v[48:49], v[16:17]
	v_add_f64 v[50:51], v[50:51], -v[52:53]
	v_add_f64 v[38:39], v[40:41], -v[42:43]
	;; [unrolled: 1-line block ×3, first 2 shown]
	v_fmac_f64_e32 v[16:17], s[6:7], v[48:49]
	v_fmac_f64_e32 v[34:35], s[12:13], v[50:51]
	v_add_f64 v[38:39], v[38:39], v[52:53]
	v_fmac_f64_e32 v[16:17], s[2:3], v[50:51]
	v_fmac_f64_e32 v[34:35], s[8:9], v[38:39]
	;; [unrolled: 1-line block ×3, first 2 shown]
	v_add_f64 v[38:39], v[40:41], v[46:47]
	v_fmac_f64_e32 v[30:31], -0.5, v[38:39]
	v_fma_f64 v[38:39], s[6:7], v[50:51], v[30:31]
	v_add_f64 v[40:41], v[42:43], -v[40:41]
	v_add_f64 v[42:43], v[44:45], -v[46:47]
	v_fmac_f64_e32 v[30:31], s[10:11], v[50:51]
	v_fmac_f64_e32 v[38:39], s[12:13], v[48:49]
	v_add_f64 v[40:41], v[40:41], v[42:43]
	v_fmac_f64_e32 v[30:31], s[2:3], v[48:49]
	v_fmac_f64_e32 v[38:39], s[8:9], v[40:41]
	;; [unrolled: 1-line block ×3, first 2 shown]
	s_waitcnt lgkmcnt(0)
	s_barrier
	ds_write2_b64 v56, v[32:33], v[34:35] offset1:16
	ds_write2_b64 v56, v[38:39], v[30:31] offset0:32 offset1:48
	ds_write_b64 v56, v[16:17] offset:512
	s_waitcnt lgkmcnt(0)
	s_barrier
	s_and_saveexec_b64 s[2:3], s[0:1]
	s_cbranch_execnz .LBB0_20
; %bb.18:
	s_or_b64 exec, exec, s[2:3]
	s_and_b64 s[0:1], vcc, s[0:1]
	s_and_saveexec_b64 s[2:3], s[0:1]
	s_cbranch_execnz .LBB0_21
.LBB0_19:
	s_endpgm
.LBB0_20:
	v_add_u32_e32 v12, 0x800, v58
	ds_read2_b64 v[32:35], v58 offset1:80
	ds_read2_b64 v[38:41], v58 offset0:160 offset1:240
	ds_read2_b64 v[16:19], v12 offset0:64 offset1:144
	v_add_u32_e32 v12, 0xc00, v58
	ds_read2_b64 v[20:23], v12 offset0:96 offset1:176
	v_add_u32_e32 v12, 0x1000, v58
	ds_read2_b64 v[12:15], v12 offset0:128 offset1:208
	s_waitcnt lgkmcnt(3)
	v_mov_b64_e32 v[30:31], v[40:41]
	s_or_b64 exec, exec, s[2:3]
	s_and_b64 s[0:1], vcc, s[0:1]
	s_and_saveexec_b64 s[2:3], s[0:1]
	s_cbranch_execz .LBB0_19
.LBB0_21:
	v_mul_u32_u24_e32 v40, 9, v66
	v_lshlrev_b32_e32 v64, 4, v40
	global_load_dwordx4 v[40:43], v64, s[4:5] offset:1040
	global_load_dwordx4 v[44:47], v64, s[4:5] offset:1072
	;; [unrolled: 1-line block ×9, first 2 shown]
	s_mov_b32 s4, 0x134454ff
	s_mov_b32 s5, 0xbfee6f0e
	s_mov_b32 s0, 0x4755a5e
	s_mov_b32 s7, 0x3fee6f0e
	s_mov_b32 s6, s4
	s_mov_b32 s1, 0xbfe2cf23
	s_mov_b32 s2, 0x372fe950
	s_mov_b32 s9, 0x3fe2cf23
	s_mov_b32 s8, s0
	s_mov_b32 s3, 0x3fd3c6ef
	s_mov_b32 s10, 0x9b97f4a8
	s_mov_b32 s11, 0xbfe9e377
	v_mov_b32_e32 v67, 0
	s_mov_b32 s13, 0xbfd3c6ef
	s_mov_b32 s12, s2
	;; [unrolled: 1-line block ×4, first 2 shown]
	s_waitcnt vmcnt(8)
	v_mul_f64 v[64:65], v[36:37], v[42:43]
	v_fma_f64 v[64:65], v[38:39], v[40:41], -v[64:65]
	v_mul_f64 v[38:39], v[38:39], v[42:43]
	s_waitcnt vmcnt(7)
	v_mul_f64 v[82:83], v[8:9], v[46:47]
	s_waitcnt vmcnt(6)
	v_mul_f64 v[84:85], v[0:1], v[50:51]
	v_fmac_f64_e32 v[38:39], v[36:37], v[40:41]
	s_waitcnt vmcnt(5)
	v_mul_f64 v[86:87], v[4:5], v[54:55]
	s_waitcnt lgkmcnt(0)
	v_mul_f64 v[36:37], v[12:13], v[50:51]
	v_mul_f64 v[40:41], v[16:17], v[46:47]
	;; [unrolled: 1-line block ×3, first 2 shown]
	v_fma_f64 v[46:47], v[12:13], v[48:49], -v[84:85]
	v_fmac_f64_e32 v[36:37], v[0:1], v[48:49]
	s_waitcnt vmcnt(3)
	v_mul_f64 v[12:13], v[18:19], v[62:63]
	v_fma_f64 v[48:49], v[16:17], v[44:45], -v[82:83]
	v_fmac_f64_e32 v[40:41], v[8:9], v[44:45]
	s_waitcnt vmcnt(2)
	v_mul_f64 v[8:9], v[14:15], v[72:73]
	s_waitcnt vmcnt(1)
	v_mul_f64 v[44:45], v[22:23], v[76:77]
	v_fma_f64 v[50:51], v[20:21], v[52:53], -v[86:87]
	v_fmac_f64_e32 v[42:43], v[4:5], v[52:53]
	v_mul_f64 v[4:5], v[10:11], v[62:63]
	v_mul_f64 v[16:17], v[6:7], v[76:77]
	v_fmac_f64_e32 v[12:13], v[10:11], v[60:61]
	v_mul_f64 v[10:11], v[2:3], v[72:73]
	v_fmac_f64_e32 v[8:9], v[2:3], v[70:71]
	v_fmac_f64_e32 v[44:45], v[6:7], v[74:75]
	v_fma_f64 v[2:3], v[18:19], v[60:61], -v[4:5]
	v_fma_f64 v[6:7], v[22:23], v[74:75], -v[16:17]
	v_add_f64 v[4:5], v[64:65], -v[48:49]
	v_add_f64 v[16:17], v[46:47], -v[50:51]
	v_mul_f64 v[0:1], v[30:31], v[58:59]
	v_add_f64 v[16:17], v[4:5], v[16:17]
	v_add_f64 v[4:5], v[48:49], -v[64:65]
	v_add_f64 v[76:77], v[50:51], -v[46:47]
	v_fmac_f64_e32 v[0:1], v[24:25], v[56:57]
	v_mul_f64 v[20:21], v[24:25], v[58:59]
	s_waitcnt vmcnt(0)
	v_mul_f64 v[24:25], v[28:29], v[80:81]
	v_add_f64 v[4:5], v[4:5], v[76:77]
	v_add_f64 v[76:77], v[64:65], v[46:47]
	v_mul_f64 v[52:53], v[34:35], v[80:81]
	v_fma_f64 v[10:11], v[14:15], v[70:71], -v[10:11]
	v_fma_f64 v[14:15], v[34:35], v[78:79], -v[24:25]
	v_add_f64 v[24:25], v[40:41], -v[42:43]
	v_fma_f64 v[76:77], -0.5, v[76:77], v[32:33]
	v_fmac_f64_e32 v[52:53], v[28:29], v[78:79]
	v_add_f64 v[22:23], v[38:39], -v[36:37]
	v_fma_f64 v[78:79], s[6:7], v[24:25], v[76:77]
	v_fmac_f64_e32 v[76:77], s[4:5], v[24:25]
	v_fma_f64 v[18:19], v[30:31], v[56:57], -v[20:21]
	v_fmac_f64_e32 v[78:79], s[0:1], v[22:23]
	v_fmac_f64_e32 v[76:77], s[8:9], v[22:23]
	v_add_f64 v[20:21], v[48:49], v[50:51]
	v_add_f64 v[28:29], v[0:1], -v[12:13]
	v_add_f64 v[30:31], v[8:9], -v[44:45]
	v_add_f64 v[54:55], v[12:13], v[44:45]
	v_add_f64 v[62:63], v[2:3], v[6:7]
	v_fmac_f64_e32 v[78:79], s[2:3], v[4:5]
	v_add_f64 v[80:81], v[12:13], -v[0:1]
	v_add_f64 v[82:83], v[44:45], -v[8:9]
	v_fmac_f64_e32 v[76:77], s[2:3], v[4:5]
	v_add_f64 v[4:5], v[18:19], v[10:11]
	v_fma_f64 v[74:75], -0.5, v[20:21], v[32:33]
	v_add_f64 v[20:21], v[28:29], v[30:31]
	v_fma_f64 v[28:29], -0.5, v[54:55], v[52:53]
	v_fma_f64 v[54:55], -0.5, v[62:63], v[14:15]
	v_add_f64 v[80:81], v[80:81], v[82:83]
	v_add_f64 v[82:83], v[0:1], v[8:9]
	v_fma_f64 v[88:89], -0.5, v[4:5], v[14:15]
	v_add_f64 v[14:15], v[18:19], v[14:15]
	v_add_f64 v[34:35], v[2:3], -v[6:7]
	v_add_f64 v[58:59], v[18:19], -v[2:3]
	v_fma_f64 v[82:83], -0.5, v[82:83], v[52:53]
	v_add_f64 v[84:85], v[2:3], -v[18:19]
	v_add_f64 v[86:87], v[6:7], -v[10:11]
	v_add_f64 v[2:3], v[2:3], v[14:15]
	v_add_f64 v[56:57], v[18:19], -v[10:11]
	v_add_f64 v[60:61], v[10:11], -v[6:7]
	;; [unrolled: 1-line block ×3, first 2 shown]
	v_add_f64 v[84:85], v[84:85], v[86:87]
	v_fma_f64 v[86:87], s[4:5], v[34:35], v[82:83]
	v_fmac_f64_e32 v[82:83], s[6:7], v[34:35]
	v_add_f64 v[2:3], v[6:7], v[2:3]
	v_add_f64 v[72:73], v[12:13], -v[44:45]
	v_add_f64 v[30:31], v[58:59], v[60:61]
	v_fma_f64 v[58:59], s[4:5], v[22:23], v[74:75]
	v_fma_f64 v[62:63], s[4:5], v[70:71], v[54:55]
	v_fmac_f64_e32 v[86:87], s[8:9], v[56:57]
	v_fmac_f64_e32 v[82:83], s[0:1], v[56:57]
	;; [unrolled: 1-line block ×3, first 2 shown]
	v_add_f64 v[22:23], v[32:33], v[64:65]
	v_add_f64 v[6:7], v[10:11], v[2:3]
	v_add_f64 v[2:3], v[38:39], -v[40:41]
	v_add_f64 v[10:11], v[36:37], -v[42:43]
	v_fma_f64 v[60:61], s[6:7], v[56:57], v[28:29]
	v_fmac_f64_e32 v[62:63], s[0:1], v[72:73]
	v_fmac_f64_e32 v[86:87], s[2:3], v[80:81]
	;; [unrolled: 1-line block ×3, first 2 shown]
	v_fma_f64 v[80:81], s[6:7], v[72:73], v[88:89]
	v_fmac_f64_e32 v[88:89], s[4:5], v[72:73]
	v_add_f64 v[18:19], v[22:23], v[48:49]
	v_add_f64 v[22:23], v[2:3], v[10:11]
	;; [unrolled: 1-line block ×3, first 2 shown]
	v_fmac_f64_e32 v[60:61], s[8:9], v[34:35]
	v_fmac_f64_e32 v[62:63], s[2:3], v[30:31]
	;; [unrolled: 1-line block ×4, first 2 shown]
	v_add_f64 v[32:33], v[48:49], -v[50:51]
	v_fma_f64 v[48:49], -0.5, v[2:3], v[26:27]
	v_add_f64 v[2:3], v[40:41], -v[38:39]
	v_add_f64 v[14:15], v[42:43], -v[36:37]
	v_fmac_f64_e32 v[60:61], s[2:3], v[20:21]
	v_fmac_f64_e32 v[80:81], s[2:3], v[84:85]
	;; [unrolled: 1-line block ×3, first 2 shown]
	v_mul_f64 v[84:85], v[62:63], s[10:11]
	v_add_f64 v[18:19], v[18:19], v[50:51]
	v_mul_f64 v[50:51], v[62:63], s[0:1]
	v_add_f64 v[2:3], v[2:3], v[14:15]
	v_add_f64 v[14:15], v[38:39], v[36:37]
	v_fmac_f64_e32 v[84:85], s[8:9], v[60:61]
	v_fmac_f64_e32 v[50:51], s[10:11], v[60:61]
	v_fma_f64 v[60:61], -0.5, v[14:15], v[26:27]
	v_add_f64 v[26:27], v[26:27], v[38:39]
	v_add_f64 v[0:1], v[0:1], v[52:53]
	v_fmac_f64_e32 v[54:55], s[6:7], v[70:71]
	v_add_f64 v[26:27], v[26:27], v[40:41]
	v_add_f64 v[0:1], v[12:13], v[0:1]
	v_fmac_f64_e32 v[28:29], s[4:5], v[56:57]
	v_fmac_f64_e32 v[54:55], s[8:9], v[72:73]
	v_add_f64 v[56:57], v[46:47], v[18:19]
	v_add_f64 v[46:47], v[64:65], -v[46:47]
	v_add_f64 v[26:27], v[26:27], v[42:43]
	v_add_f64 v[0:1], v[44:45], v[0:1]
	v_fmac_f64_e32 v[54:55], s[2:3], v[30:31]
	v_fma_f64 v[64:65], s[4:5], v[32:33], v[60:61]
	v_fmac_f64_e32 v[60:61], s[6:7], v[32:33]
	v_fma_f64 v[70:71], s[6:7], v[46:47], v[48:49]
	v_fmac_f64_e32 v[48:49], s[4:5], v[46:47]
	v_add_f64 v[42:43], v[36:37], v[26:27]
	v_add_f64 v[0:1], v[8:9], v[0:1]
	v_fmac_f64_e32 v[58:59], s[0:1], v[24:25]
	v_fmac_f64_e32 v[28:29], s[0:1], v[34:35]
	;; [unrolled: 1-line block ×5, first 2 shown]
	v_mul_f64 v[46:47], v[54:55], s[0:1]
	v_add_f64 v[8:9], v[42:43], -v[0:1]
	v_add_f64 v[42:43], v[42:43], v[0:1]
	v_lshl_add_u64 v[0:1], v[66:67], 4, v[68:69]
	s_movk_i32 s0, 0x1000
	v_fmac_f64_e32 v[74:75], s[8:9], v[24:25]
	v_mul_f64 v[90:91], v[80:81], s[12:13]
	v_fmac_f64_e32 v[28:29], s[2:3], v[20:21]
	v_mul_f64 v[34:35], v[88:89], s[2:3]
	v_mul_f64 v[30:31], v[54:55], s[14:15]
	v_add_f64 v[10:11], v[56:57], -v[6:7]
	v_mul_f64 v[62:63], v[80:81], s[4:5]
	v_fmac_f64_e32 v[70:71], s[8:9], v[32:33]
	v_mul_f64 v[72:73], v[88:89], s[4:5]
	v_add_f64 v[44:45], v[56:57], v[6:7]
	v_add_co_u32_e32 v6, vcc, s0, v0
	v_fmac_f64_e32 v[58:59], s[2:3], v[16:17]
	v_fmac_f64_e32 v[74:75], s[2:3], v[16:17]
	;; [unrolled: 1-line block ×12, first 2 shown]
	v_addc_co_u32_e32 v7, vcc, 0, v1, vcc
	v_add_f64 v[20:21], v[76:77], -v[34:35]
	v_add_f64 v[24:25], v[74:75], -v[30:31]
	v_add_f64 v[28:29], v[58:59], v[84:85]
	v_add_f64 v[32:33], v[78:79], v[90:91]
	;; [unrolled: 1-line block ×8, first 2 shown]
	global_store_dwordx4 v[0:1], v[42:45], off
	global_store_dwordx4 v[0:1], v[38:41], off offset:1280
	global_store_dwordx4 v[0:1], v[34:37], off offset:2560
	;; [unrolled: 1-line block ×3, first 2 shown]
	v_add_co_u32_e32 v0, vcc, 0x2000, v0
	v_or_b32_e32 v66, 0x280, v66
	v_add_f64 v[16:17], v[78:79], -v[90:91]
	v_add_f64 v[14:15], v[64:65], -v[62:63]
	;; [unrolled: 1-line block ×4, first 2 shown]
	global_store_dwordx4 v[6:7], v[26:29], off offset:1024
	global_store_dwordx4 v[6:7], v[8:11], off offset:2304
	;; [unrolled: 1-line block ×3, first 2 shown]
	v_addc_co_u32_e32 v1, vcc, 0, v1, vcc
	v_lshl_add_u64 v[6:7], v[66:67], 4, v[68:69]
	v_add_f64 v[4:5], v[58:59], -v[84:85]
	v_add_f64 v[2:3], v[70:71], -v[50:51]
	global_store_dwordx4 v[0:1], v[18:21], off offset:768
	global_store_dwordx4 v[6:7], v[14:17], off
	global_store_dwordx4 v[0:1], v[2:5], off offset:3328
	s_endpgm
	.section	.rodata,"a",@progbits
	.p2align	6, 0x0
	.amdhsa_kernel fft_rtc_back_len800_factors_16_5_10_wgs_160_tpt_160_halfLds_dp_ip_CI_unitstride_sbrr_dirReg
		.amdhsa_group_segment_fixed_size 0
		.amdhsa_private_segment_fixed_size 0
		.amdhsa_kernarg_size 88
		.amdhsa_user_sgpr_count 2
		.amdhsa_user_sgpr_dispatch_ptr 0
		.amdhsa_user_sgpr_queue_ptr 0
		.amdhsa_user_sgpr_kernarg_segment_ptr 1
		.amdhsa_user_sgpr_dispatch_id 0
		.amdhsa_user_sgpr_kernarg_preload_length 0
		.amdhsa_user_sgpr_kernarg_preload_offset 0
		.amdhsa_user_sgpr_private_segment_size 0
		.amdhsa_uses_dynamic_stack 0
		.amdhsa_enable_private_segment 0
		.amdhsa_system_sgpr_workgroup_id_x 1
		.amdhsa_system_sgpr_workgroup_id_y 0
		.amdhsa_system_sgpr_workgroup_id_z 0
		.amdhsa_system_sgpr_workgroup_info 0
		.amdhsa_system_vgpr_workitem_id 0
		.amdhsa_next_free_vgpr 96
		.amdhsa_next_free_sgpr 22
		.amdhsa_accum_offset 96
		.amdhsa_reserve_vcc 1
		.amdhsa_float_round_mode_32 0
		.amdhsa_float_round_mode_16_64 0
		.amdhsa_float_denorm_mode_32 3
		.amdhsa_float_denorm_mode_16_64 3
		.amdhsa_dx10_clamp 1
		.amdhsa_ieee_mode 1
		.amdhsa_fp16_overflow 0
		.amdhsa_tg_split 0
		.amdhsa_exception_fp_ieee_invalid_op 0
		.amdhsa_exception_fp_denorm_src 0
		.amdhsa_exception_fp_ieee_div_zero 0
		.amdhsa_exception_fp_ieee_overflow 0
		.amdhsa_exception_fp_ieee_underflow 0
		.amdhsa_exception_fp_ieee_inexact 0
		.amdhsa_exception_int_div_zero 0
	.end_amdhsa_kernel
	.text
.Lfunc_end0:
	.size	fft_rtc_back_len800_factors_16_5_10_wgs_160_tpt_160_halfLds_dp_ip_CI_unitstride_sbrr_dirReg, .Lfunc_end0-fft_rtc_back_len800_factors_16_5_10_wgs_160_tpt_160_halfLds_dp_ip_CI_unitstride_sbrr_dirReg
                                        ; -- End function
	.section	.AMDGPU.csdata,"",@progbits
; Kernel info:
; codeLenInByte = 5508
; NumSgprs: 28
; NumVgprs: 96
; NumAgprs: 0
; TotalNumVgprs: 96
; ScratchSize: 0
; MemoryBound: 1
; FloatMode: 240
; IeeeMode: 1
; LDSByteSize: 0 bytes/workgroup (compile time only)
; SGPRBlocks: 3
; VGPRBlocks: 11
; NumSGPRsForWavesPerEU: 28
; NumVGPRsForWavesPerEU: 96
; AccumOffset: 96
; Occupancy: 5
; WaveLimiterHint : 1
; COMPUTE_PGM_RSRC2:SCRATCH_EN: 0
; COMPUTE_PGM_RSRC2:USER_SGPR: 2
; COMPUTE_PGM_RSRC2:TRAP_HANDLER: 0
; COMPUTE_PGM_RSRC2:TGID_X_EN: 1
; COMPUTE_PGM_RSRC2:TGID_Y_EN: 0
; COMPUTE_PGM_RSRC2:TGID_Z_EN: 0
; COMPUTE_PGM_RSRC2:TIDIG_COMP_CNT: 0
; COMPUTE_PGM_RSRC3_GFX90A:ACCUM_OFFSET: 23
; COMPUTE_PGM_RSRC3_GFX90A:TG_SPLIT: 0
	.text
	.p2alignl 6, 3212836864
	.fill 256, 4, 3212836864
	.type	__hip_cuid_c5a8c25abf6b4b87,@object ; @__hip_cuid_c5a8c25abf6b4b87
	.section	.bss,"aw",@nobits
	.globl	__hip_cuid_c5a8c25abf6b4b87
__hip_cuid_c5a8c25abf6b4b87:
	.byte	0                               ; 0x0
	.size	__hip_cuid_c5a8c25abf6b4b87, 1

	.ident	"AMD clang version 19.0.0git (https://github.com/RadeonOpenCompute/llvm-project roc-6.4.0 25133 c7fe45cf4b819c5991fe208aaa96edf142730f1d)"
	.section	".note.GNU-stack","",@progbits
	.addrsig
	.addrsig_sym __hip_cuid_c5a8c25abf6b4b87
	.amdgpu_metadata
---
amdhsa.kernels:
  - .agpr_count:     0
    .args:
      - .actual_access:  read_only
        .address_space:  global
        .offset:         0
        .size:           8
        .value_kind:     global_buffer
      - .offset:         8
        .size:           8
        .value_kind:     by_value
      - .actual_access:  read_only
        .address_space:  global
        .offset:         16
        .size:           8
        .value_kind:     global_buffer
      - .actual_access:  read_only
        .address_space:  global
        .offset:         24
        .size:           8
        .value_kind:     global_buffer
      - .offset:         32
        .size:           8
        .value_kind:     by_value
      - .actual_access:  read_only
        .address_space:  global
        .offset:         40
        .size:           8
        .value_kind:     global_buffer
      - .actual_access:  read_only
        .address_space:  global
        .offset:         48
        .size:           8
        .value_kind:     global_buffer
      - .offset:         56
        .size:           4
        .value_kind:     by_value
      - .actual_access:  read_only
        .address_space:  global
        .offset:         64
        .size:           8
        .value_kind:     global_buffer
      - .actual_access:  read_only
        .address_space:  global
        .offset:         72
        .size:           8
        .value_kind:     global_buffer
      - .address_space:  global
        .offset:         80
        .size:           8
        .value_kind:     global_buffer
    .group_segment_fixed_size: 0
    .kernarg_segment_align: 8
    .kernarg_segment_size: 88
    .language:       OpenCL C
    .language_version:
      - 2
      - 0
    .max_flat_workgroup_size: 160
    .name:           fft_rtc_back_len800_factors_16_5_10_wgs_160_tpt_160_halfLds_dp_ip_CI_unitstride_sbrr_dirReg
    .private_segment_fixed_size: 0
    .sgpr_count:     28
    .sgpr_spill_count: 0
    .symbol:         fft_rtc_back_len800_factors_16_5_10_wgs_160_tpt_160_halfLds_dp_ip_CI_unitstride_sbrr_dirReg.kd
    .uniform_work_group_size: 1
    .uses_dynamic_stack: false
    .vgpr_count:     96
    .vgpr_spill_count: 0
    .wavefront_size: 64
amdhsa.target:   amdgcn-amd-amdhsa--gfx950
amdhsa.version:
  - 1
  - 2
...

	.end_amdgpu_metadata
